;; amdgpu-corpus repo=zjin-lcf/HeCBench kind=compiled arch=gfx1250 opt=O3
	.amdgcn_target "amdgcn-amd-amdhsa--gfx1250"
	.amdhsa_code_object_version 6
	.text
	.protected	_Z9laplace3diiiiPKfPf   ; -- Begin function _Z9laplace3diiiiPKfPf
	.globl	_Z9laplace3diiiiPKfPf
	.p2align	8
	.type	_Z9laplace3diiiiPKfPf,@function
_Z9laplace3diiiiPKfPf:                  ; @_Z9laplace3diiiiPKfPf
; %bb.0:
	s_load_b128 s[8:11], s[0:1], 0x0
	s_bfe_u32 s2, ttmp6, 0x4000c
	s_bfe_u32 s4, ttmp6, 0x40010
	s_add_co_i32 s2, s2, 1
	v_and_b32_e32 v1, 0x3ff, v0
	v_bfe_u32 v2, v0, 10, 10
	s_and_b32 s3, ttmp6, 15
	s_mul_i32 s2, ttmp9, s2
	s_add_co_i32 s4, s4, 1
	s_add_co_i32 s3, s3, s2
	s_mul_i32 s2, ttmp7, s4
	s_bfe_u32 s4, ttmp6, 0x40004
	s_getreg_b32 s5, hwreg(HW_REG_IB_STS2, 6, 4)
	v_lshl_add_u32 v3, v2, 5, v1
	s_add_co_i32 s4, s4, s2
	s_cmp_eq_u32 s5, 0
                                        ; implicit-def: $vgpr0
                                        ; implicit-def: $vgpr4
                                        ; implicit-def: $vgpr6
                                        ; implicit-def: $vgpr5
	s_mov_b32 s2, exec_lo
	s_cselect_b32 s6, ttmp9, s3
	s_cselect_b32 s7, ttmp7, s4
                                        ; implicit-def: $sgpr3
	v_cmpx_gt_u32_e32 0x54, v3
	s_xor_b32 s5, exec_lo, s2
	s_cbranch_execz .LBB0_6
; %bb.1:
	s_mov_b32 s2, exec_lo
                                        ; implicit-def: $vgpr4
                                        ; implicit-def: $vgpr0
	v_cmpx_lt_u32_e32 1, v2
	s_xor_b32 s2, exec_lo, s2
; %bb.2:
	v_dual_lshrrev_b32 v5, 1, v3 :: v_dual_bitop2_b32 v0, 1, v1 bitop3:0x40
	s_delay_alu instid0(VALU_DEP_1) | instskip(NEXT) | instid1(VALU_DEP_2)
	v_cmp_eq_u32_e32 vcc_lo, 1, v0
	v_subrev_nc_u32_e32 v0, 33, v5
	v_cndmask_b32_e64 v4, -1, 32, vcc_lo
; %bb.3:
	s_and_not1_saveexec_b32 s2, s2
; %bb.4:
	v_mad_u32_u24 v0, v2, 9, -1
	v_mov_b32_e32 v4, v1
; %bb.5:
	s_or_b32 exec_lo, exec_lo, s2
	s_delay_alu instid0(VALU_DEP_2) | instskip(SKIP_4) | instid1(VALU_DEP_1)
	v_mul_lo_u32 v5, v0, 34
	s_lshl_b32 s12, s7, 3
	s_lshl_b32 s13, s6, 5
	v_add_nc_u32_e32 v0, s12, v0
	v_add_nc_u32_e32 v6, s13, v4
	v_cmp_gt_i32_e64 s3, 0, v6
	s_wait_kmcnt 0x0
	v_cmp_le_i32_e64 s4, s8, v6
	v_add3_u32 v4, v5, v4, 0x177
	v_mov_b32_e32 v5, s12
	v_cmp_gt_i32_e32 vcc_lo, 0, v0
	v_cmp_le_i32_e64 s2, s9, v0
	v_mad_u32 v0, v0, s11, v6
	v_mov_b32_e32 v6, s13
	s_or_b32 s3, s3, s4
	s_or_b32 s2, vcc_lo, s2
	s_delay_alu instid0(SALU_CYCLE_1)
	s_or_b32 s3, s3, s2
.LBB0_6:
	s_or_saveexec_b32 s2, s5
	s_load_b64 s[4:5], s[0:1], 0x10
	s_xor_b32 exec_lo, exec_lo, s2
; %bb.7:
	s_lshl_b32 s6, s6, 5
	s_lshl_b32 s7, s7, 3
	s_delay_alu instid0(SALU_CYCLE_1)
	v_dual_mov_b32 v4, 0 :: v_dual_mov_b32 v5, s7
	v_mov_b32_e32 v6, s6
	s_or_b32 s3, s3, exec_lo
                                        ; implicit-def: $vgpr0
; %bb.8:
	s_or_b32 exec_lo, exec_lo, s2
	s_delay_alu instid0(VALU_DEP_1) | instskip(SKIP_3) | instid1(VALU_DEP_2)
	v_dual_add_nc_u32 v7, v6, v1 :: v_dual_add_nc_u32 v6, v5, v2
	v_lshl_add_u32 v2, v2, 1, v3
	s_xor_b32 s3, s3, -1
	s_wait_kmcnt 0x0
	v_cmp_gt_i32_e32 vcc_lo, s8, v7
	v_mad_u32 v1, s11, v6, v7
	v_cmp_gt_i32_e64 s2, s9, v6
	v_lshlrev_b32_e32 v2, 2, v2
	s_and_b32 s12, vcc_lo, s2
	s_delay_alu instid0(SALU_CYCLE_1)
	s_and_saveexec_b32 s2, s12
	s_cbranch_execnz .LBB0_11
; %bb.9:
	s_or_b32 exec_lo, exec_lo, s2
	v_lshlrev_b32_e32 v3, 2, v4
	s_and_saveexec_b32 s2, s3
	s_cbranch_execnz .LBB0_12
.LBB0_10:
	s_or_b32 exec_lo, exec_lo, s2
	s_cmp_lt_i32 s10, 1
	s_cbranch_scc0 .LBB0_13
	s_branch .LBB0_38
.LBB0_11:
	global_load_b32 v3, v1, s[4:5] scale_offset
	s_wait_loadcnt 0x0
	ds_store_b32 v2, v3 offset:2860
	s_or_b32 exec_lo, exec_lo, s2
	v_lshlrev_b32_e32 v3, 2, v4
	s_and_saveexec_b32 s2, s3
	s_cbranch_execz .LBB0_10
.LBB0_12:
	global_load_b32 v4, v0, s[4:5] scale_offset
	s_wait_loadcnt 0x0
	ds_store_b32 v3, v4 offset:1360
	s_or_b32 exec_lo, exec_lo, s2
	s_cmp_lt_i32 s10, 1
	s_cbranch_scc1 .LBB0_38
.LBB0_13:
	s_mul_i32 s11, s11, s9
                                        ; implicit-def: $vgpr4
	s_and_saveexec_b32 s2, s12
	s_cbranch_execz .LBB0_17
; %bb.14:
	ds_load_b32 v4, v2 offset:1500
	ds_load_b32 v8, v2 offset:2860
	v_add_nc_u32_e32 v5, s11, v1
	s_cmp_eq_u32 s10, 1
	s_wait_dscnt 0x1
	ds_store_b32 v2, v4 offset:140
	s_wait_dscnt 0x1
	ds_store_b32 v2, v8 offset:1500
	s_cbranch_scc1 .LBB0_16
; %bb.15:
	global_load_b32 v8, v5, s[4:5] scale_offset
	v_dual_mov_b32 v4, v1 :: v_dual_mov_b32 v1, v5
	s_wait_loadcnt 0x0
	ds_store_b32 v2, v8 offset:2860
	s_branch .LBB0_17
.LBB0_16:
	v_dual_mov_b32 v4, v1 :: v_dual_mov_b32 v1, v5
.LBB0_17:
	s_or_b32 exec_lo, exec_lo, s2
	s_load_b64 s[6:7], s[0:1], 0x18
	v_add_nc_u32_e32 v5, 0xfffffab0, v3
	s_wait_xcnt 0x0
	s_and_saveexec_b32 s0, s3
	s_cbranch_execz .LBB0_20
; %bb.18:
	ds_load_b32 v8, v3
	ds_load_b32 v9, v3 offset:1360
	v_add_nc_u32_e32 v0, s11, v0
	s_cmp_eq_u32 s10, 1
	s_wait_dscnt 0x1
	ds_store_b32 v5, v8
	s_wait_dscnt 0x1
	ds_store_b32 v3, v9
	s_cbranch_scc1 .LBB0_20
; %bb.19:
	global_load_b32 v8, v0, s[4:5] scale_offset
	s_wait_loadcnt 0x0
	ds_store_b32 v3, v8 offset:1360
.LBB0_20:
	s_or_b32 exec_lo, exec_lo, s0
	s_wait_dscnt 0x0
	s_barrier_signal -1
	s_barrier_wait -1
	s_and_saveexec_b32 s0, s12
	s_cbranch_execz .LBB0_22
; %bb.21:
	ds_load_b32 v8, v2 offset:1500
	s_wait_dscnt 0x0
	s_wait_kmcnt 0x0
	global_store_b32 v4, v8, s[6:7] scale_offset
.LBB0_22:
	s_wait_xcnt 0x0
	s_or_b32 exec_lo, exec_lo, s0
	s_cmp_eq_u32 s10, 1
	s_wait_storecnt 0x0
	s_barrier_signal -1
	s_barrier_wait -1
	s_cbranch_scc1 .LBB0_38
; %bb.23:
	s_add_co_i32 s0, s8, -1
	v_cmp_eq_u32_e32 vcc_lo, 0, v7
	v_cmp_eq_u32_e64 s0, s0, v7
	s_add_co_i32 s2, s9, -1
	v_cmp_eq_u32_e64 s1, 0, v6
	v_cmp_eq_u32_e64 s2, s2, v6
	v_add_nc_u32_e32 v6, 0x400, v2
	s_or_b32 s8, vcc_lo, s0
	s_mov_b32 s9, 0
	s_or_b32 s1, s8, s1
	s_add_co_i32 s0, s10, -1
	s_or_b32 s2, s1, s2
	s_add_co_i32 s1, s10, -2
	s_xor_b32 s2, s2, -1
	s_branch .LBB0_26
.LBB0_24:                               ;   in Loop: Header=BB0_26 Depth=1
	s_or_b32 exec_lo, exec_lo, s9
	s_wait_dscnt 0x0
	s_wait_kmcnt 0x0
	global_store_b32 v4, v7, s[6:7] scale_offset
.LBB0_25:                               ;   in Loop: Header=BB0_26 Depth=1
	s_wait_xcnt 0x0
	s_or_b32 exec_lo, exec_lo, s10
	s_cmp_lg_u32 s0, s8
	s_mov_b32 s9, s8
	s_wait_storecnt 0x0
	s_barrier_signal -1
	s_barrier_wait -1
	s_cbranch_scc0 .LBB0_38
.LBB0_26:                               ; =>This Inner Loop Header: Depth=1
	s_add_co_i32 s8, s9, 1
	s_and_saveexec_b32 s10, s12
	s_cbranch_execz .LBB0_30
; %bb.27:                               ;   in Loop: Header=BB0_26 Depth=1
	ds_load_b32 v4, v2 offset:1500
	ds_load_b32 v8, v2 offset:2860
	v_add_nc_u32_e32 v7, s11, v1
	s_cmp_ge_i32 s8, s0
	s_wait_dscnt 0x1
	ds_store_b32 v2, v4 offset:140
	s_wait_dscnt 0x1
	ds_store_b32 v2, v8 offset:1500
	s_cbranch_scc1 .LBB0_29
; %bb.28:                               ;   in Loop: Header=BB0_26 Depth=1
	global_load_b32 v4, v7, s[4:5] scale_offset
	s_wait_loadcnt 0x0
	ds_store_b32 v2, v4 offset:2860
.LBB0_29:                               ;   in Loop: Header=BB0_26 Depth=1
	v_dual_mov_b32 v4, v1 :: v_dual_mov_b32 v1, v7
.LBB0_30:                               ;   in Loop: Header=BB0_26 Depth=1
	s_or_b32 exec_lo, exec_lo, s10
	s_and_saveexec_b32 s10, s3
	s_cbranch_execz .LBB0_33
; %bb.31:                               ;   in Loop: Header=BB0_26 Depth=1
	ds_load_b32 v7, v3
	ds_load_b32 v8, v3 offset:1360
	v_add_nc_u32_e32 v0, s11, v0
	s_cmp_ge_i32 s8, s0
	s_wait_dscnt 0x1
	ds_store_b32 v5, v7
	s_wait_dscnt 0x1
	ds_store_b32 v3, v8
	s_cbranch_scc1 .LBB0_33
; %bb.32:                               ;   in Loop: Header=BB0_26 Depth=1
	global_load_b32 v7, v0, s[4:5] scale_offset
	s_wait_loadcnt 0x0
	ds_store_b32 v3, v7 offset:1360
.LBB0_33:                               ;   in Loop: Header=BB0_26 Depth=1
	s_or_b32 exec_lo, exec_lo, s10
	s_wait_dscnt 0x0
	s_barrier_signal -1
	s_barrier_wait -1
	s_and_saveexec_b32 s10, s12
	s_cbranch_execz .LBB0_25
; %bb.34:                               ;   in Loop: Header=BB0_26 Depth=1
	s_cmp_lg_u32 s1, s9
                                        ; implicit-def: $vgpr7
	s_cselect_b32 s9, -1, 0
	s_delay_alu instid0(SALU_CYCLE_1) | instskip(NEXT) | instid1(SALU_CYCLE_1)
	s_and_b32 s9, s2, s9
	s_and_saveexec_b32 s13, s9
	s_delay_alu instid0(SALU_CYCLE_1)
	s_xor_b32 s9, exec_lo, s13
	s_cbranch_execz .LBB0_36
; %bb.35:                               ;   in Loop: Header=BB0_26 Depth=1
	ds_load_2addr_b32 v[8:9], v6 offset0:85 offset1:118
	ds_load_2addr_b32 v[10:11], v6 offset0:120 offset1:153
	ds_load_b32 v7, v2 offset:140
	s_wait_dscnt 0x1
	v_add_f32_e32 v9, v9, v10
	ds_load_b32 v10, v2 offset:2860
	v_add_f32_e32 v8, v9, v8
	s_delay_alu instid0(VALU_DEP_1) | instskip(SKIP_1) | instid1(VALU_DEP_1)
	v_add_f32_e32 v8, v8, v11
	s_wait_dscnt 0x1
	v_add_f32_e32 v7, v8, v7
	s_wait_dscnt 0x0
	s_delay_alu instid0(VALU_DEP_1) | instskip(NEXT) | instid1(VALU_DEP_1)
	v_add_f32_e32 v7, v7, v10
	v_mul_f32_e32 v7, 0x3e2aaaab, v7
.LBB0_36:                               ;   in Loop: Header=BB0_26 Depth=1
	s_and_not1_saveexec_b32 s9, s9
	s_cbranch_execz .LBB0_24
; %bb.37:                               ;   in Loop: Header=BB0_26 Depth=1
	ds_load_b32 v7, v2 offset:1500
	s_branch .LBB0_24
.LBB0_38:
	s_endpgm
	.section	.rodata,"a",@progbits
	.p2align	6, 0x0
	.amdhsa_kernel _Z9laplace3diiiiPKfPf
		.amdhsa_group_segment_fixed_size 4080
		.amdhsa_private_segment_fixed_size 0
		.amdhsa_kernarg_size 32
		.amdhsa_user_sgpr_count 2
		.amdhsa_user_sgpr_dispatch_ptr 0
		.amdhsa_user_sgpr_queue_ptr 0
		.amdhsa_user_sgpr_kernarg_segment_ptr 1
		.amdhsa_user_sgpr_dispatch_id 0
		.amdhsa_user_sgpr_kernarg_preload_length 0
		.amdhsa_user_sgpr_kernarg_preload_offset 0
		.amdhsa_user_sgpr_private_segment_size 0
		.amdhsa_wavefront_size32 1
		.amdhsa_uses_dynamic_stack 0
		.amdhsa_enable_private_segment 0
		.amdhsa_system_sgpr_workgroup_id_x 1
		.amdhsa_system_sgpr_workgroup_id_y 1
		.amdhsa_system_sgpr_workgroup_id_z 0
		.amdhsa_system_sgpr_workgroup_info 0
		.amdhsa_system_vgpr_workitem_id 1
		.amdhsa_next_free_vgpr 12
		.amdhsa_next_free_sgpr 14
		.amdhsa_named_barrier_count 0
		.amdhsa_reserve_vcc 1
		.amdhsa_float_round_mode_32 0
		.amdhsa_float_round_mode_16_64 0
		.amdhsa_float_denorm_mode_32 3
		.amdhsa_float_denorm_mode_16_64 3
		.amdhsa_fp16_overflow 0
		.amdhsa_memory_ordered 1
		.amdhsa_forward_progress 1
		.amdhsa_inst_pref_size 11
		.amdhsa_round_robin_scheduling 0
		.amdhsa_exception_fp_ieee_invalid_op 0
		.amdhsa_exception_fp_denorm_src 0
		.amdhsa_exception_fp_ieee_div_zero 0
		.amdhsa_exception_fp_ieee_overflow 0
		.amdhsa_exception_fp_ieee_underflow 0
		.amdhsa_exception_fp_ieee_inexact 0
		.amdhsa_exception_int_div_zero 0
	.end_amdhsa_kernel
	.text
.Lfunc_end0:
	.size	_Z9laplace3diiiiPKfPf, .Lfunc_end0-_Z9laplace3diiiiPKfPf
                                        ; -- End function
	.set _Z9laplace3diiiiPKfPf.num_vgpr, 12
	.set _Z9laplace3diiiiPKfPf.num_agpr, 0
	.set _Z9laplace3diiiiPKfPf.numbered_sgpr, 14
	.set _Z9laplace3diiiiPKfPf.num_named_barrier, 0
	.set _Z9laplace3diiiiPKfPf.private_seg_size, 0
	.set _Z9laplace3diiiiPKfPf.uses_vcc, 1
	.set _Z9laplace3diiiiPKfPf.uses_flat_scratch, 0
	.set _Z9laplace3diiiiPKfPf.has_dyn_sized_stack, 0
	.set _Z9laplace3diiiiPKfPf.has_recursion, 0
	.set _Z9laplace3diiiiPKfPf.has_indirect_call, 0
	.section	.AMDGPU.csdata,"",@progbits
; Kernel info:
; codeLenInByte = 1288
; TotalNumSgprs: 16
; NumVgprs: 12
; ScratchSize: 0
; MemoryBound: 0
; FloatMode: 240
; IeeeMode: 1
; LDSByteSize: 4080 bytes/workgroup (compile time only)
; SGPRBlocks: 0
; VGPRBlocks: 0
; NumSGPRsForWavesPerEU: 16
; NumVGPRsForWavesPerEU: 12
; NamedBarCnt: 0
; Occupancy: 16
; WaveLimiterHint : 0
; COMPUTE_PGM_RSRC2:SCRATCH_EN: 0
; COMPUTE_PGM_RSRC2:USER_SGPR: 2
; COMPUTE_PGM_RSRC2:TRAP_HANDLER: 0
; COMPUTE_PGM_RSRC2:TGID_X_EN: 1
; COMPUTE_PGM_RSRC2:TGID_Y_EN: 1
; COMPUTE_PGM_RSRC2:TGID_Z_EN: 0
; COMPUTE_PGM_RSRC2:TIDIG_COMP_CNT: 1
	.text
	.p2alignl 7, 3214868480
	.fill 96, 4, 3214868480
	.section	.AMDGPU.gpr_maximums,"",@progbits
	.set amdgpu.max_num_vgpr, 0
	.set amdgpu.max_num_agpr, 0
	.set amdgpu.max_num_sgpr, 0
	.text
	.type	__hip_cuid_d9452e914eb24b0f,@object ; @__hip_cuid_d9452e914eb24b0f
	.section	.bss,"aw",@nobits
	.globl	__hip_cuid_d9452e914eb24b0f
__hip_cuid_d9452e914eb24b0f:
	.byte	0                               ; 0x0
	.size	__hip_cuid_d9452e914eb24b0f, 1

	.ident	"AMD clang version 22.0.0git (https://github.com/RadeonOpenCompute/llvm-project roc-7.2.4 26084 f58b06dce1f9c15707c5f808fd002e18c2accf7e)"
	.section	".note.GNU-stack","",@progbits
	.addrsig
	.addrsig_sym __hip_cuid_d9452e914eb24b0f
	.amdgpu_metadata
---
amdhsa.kernels:
  - .args:
      - .offset:         0
        .size:           4
        .value_kind:     by_value
      - .offset:         4
        .size:           4
        .value_kind:     by_value
      - .offset:         8
        .size:           4
        .value_kind:     by_value
      - .offset:         12
        .size:           4
        .value_kind:     by_value
      - .actual_access:  read_only
        .address_space:  global
        .offset:         16
        .size:           8
        .value_kind:     global_buffer
      - .actual_access:  write_only
        .address_space:  global
        .offset:         24
        .size:           8
        .value_kind:     global_buffer
    .group_segment_fixed_size: 4080
    .kernarg_segment_align: 8
    .kernarg_segment_size: 32
    .language:       OpenCL C
    .language_version:
      - 2
      - 0
    .max_flat_workgroup_size: 1024
    .name:           _Z9laplace3diiiiPKfPf
    .private_segment_fixed_size: 0
    .sgpr_count:     16
    .sgpr_spill_count: 0
    .symbol:         _Z9laplace3diiiiPKfPf.kd
    .uniform_work_group_size: 1
    .uses_dynamic_stack: false
    .vgpr_count:     12
    .vgpr_spill_count: 0
    .wavefront_size: 32
amdhsa.target:   amdgcn-amd-amdhsa--gfx1250
amdhsa.version:
  - 1
  - 2
...

	.end_amdgpu_metadata
